;; amdgpu-corpus repo=ROCm/aiter kind=harvested arch=n/a opt=n/a

/root/src/amdgpu-assembly/repos/ROCm__aiter/hsa/gfx950/fmha_v3_bwd/bwd_hd128_odo_bf16.co:	file format elf64-amdgpu

Disassembly of section .text:

0000000000002400 <_ZN5aiter23fmha_bwd_hd128_odo_bf16E>:
	s_and_b32 s1, s1, 0xffff                                   // 000000002400: 8601FF01 0000FFFF
	s_load_dwordx2 s[12:13], s[0:1], 0x0                       // 000000002408: C0060300 00000000
	s_load_dwordx2 s[20:21], s[0:1], 0x10                      // 000000002410: C0060500 00000010
	s_load_dwordx2 s[16:17], s[0:1], 0x20                      // 000000002418: C0060400 00000020
	s_load_dword s6, s[0:1], 0x30                              // 000000002420: C0020180 00000030
	s_load_dword s8, s[0:1], 0x50                              // 000000002428: C0020200 00000050
	s_load_dword s50, s[0:1], 0x60                             // 000000002430: C0020C80 00000060
	s_load_dword s52, s[0:1], 0x80                             // 000000002438: C0020D00 00000080
	s_load_dword s9, s[0:1], 0x90                              // 000000002440: C0020240 00000090
	s_load_dword s11, s[0:1], 0xb0                             // 000000002448: C00202C0 000000B0
	s_load_dword s37, s[0:1], 0xd0                             // 000000002450: C0020940 000000D0
	s_load_dword s7, s[0:1], 0x40                              // 000000002458: C00201C0 00000040
	s_load_dword s51, s[0:1], 0x70                             // 000000002460: C0020CC0 00000070
	s_load_dword s10, s[0:1], 0xa0                             // 000000002468: C0020280 000000A0
	s_load_dword s39, s[0:1], 0xc0                             // 000000002470: C00209C0 000000C0
	v_lshrrev_b32_e32 v1, 10, v0                               // 000000002478: 2002008A
	v_lshrrev_b32_e32 v2, 10, v1                               // 00000000247C: 2004028A
	v_and_b32_e32 v2, 0x3ff, v2                                // 000000002480: 260404FF 000003FF
	v_and_b32_e32 v1, 0x3ff, v1                                // 000000002488: 260202FF 000003FF
	v_and_b32_e32 v0, 0x3ff, v0                                // 000000002490: 260000FF 000003FF
	v_lshrrev_b32_e32 v3, 6, v0                                // 000000002498: 20060086
	v_and_b32_e32 v0, 63, v0                                   // 00000000249C: 260000BF
	s_mov_b32 s2, s2                                           // 0000000024A0: BE820002
	s_mov_b32 s3, s3                                           // 0000000024A4: BE830003
	s_mov_b32 s4, s4                                           // 0000000024A8: BE840004
	v_readfirstlane_b32 s30, v3                                // 0000000024AC: 7E3C0503
	s_waitcnt lgkmcnt(0)                                       // 0000000024B0: BF8CC07F
	s_mov_b32 s15, 0x20000                                     // 0000000024B4: BE8F00FF 00020000
	s_mov_b32 s19, 0x20000                                     // 0000000024BC: BE9300FF 00020000
	s_mov_b32 s23, 0x20000                                     // 0000000024C4: BE9700FF 00020000
	s_and_b32 s13, s13, 0xffff                                 // 0000000024CC: 860DFF0D 0000FFFF
	s_and_b32 s17, s17, 0xffff                                 // 0000000024D4: 8611FF11 0000FFFF
	s_and_b32 s21, s21, 0xffff                                 // 0000000024DC: 8615FF15 0000FFFF
	s_or_b32 s13, s13, 0x40000                                 // 0000000024E4: 870DFF0D 00040000
	s_or_b32 s17, s17, 0x40000                                 // 0000000024EC: 8711FF11 00040000
	s_or_b32 s21, s21, 0x40000                                 // 0000000024F4: 8715FF15 00040000
	v_mov_b32_e32 v39, 0                                       // 0000000024FC: 7E4E0280
	s_mov_b32 s24, s12                                         // 000000002500: BE98000C
	s_mov_b32 s25, s13                                         // 000000002504: BE99000D
	s_mov_b32 s26, s16                                         // 000000002508: BE9A0010
	s_mov_b32 s27, s17                                         // 00000000250C: BE9B0011
	s_mov_b32 s28, s20                                         // 000000002510: BE9C0014
	s_mov_b32 s29, s21                                         // 000000002514: BE9D0015
	s_mul_i32 s31, s8, 0x80                                    // 000000002518: 921FFF08 00000080
	s_mul_i32 s31, s2, s31                                     // 000000002520: 921F1F02
	s_mul_i32 s32, s3, s6                                      // 000000002524: 92200603
	s_mul_i32 s33, s4, s7                                      // 000000002528: 92210704
	s_mul_hi_u32 s35, s4, s7                                   // 00000000252C: 96230704
	s_add_u32 s34, s31, s32                                    // 000000002530: 8022201F
	s_add_u32 s34, s34, s33                                    // 000000002534: 80222122
	s_addc_u32 s35, s35, 0                                     // 000000002538: 82238023
	s_mul_i32 s32, s39, s8                                     // 00000000253C: 92200827
	s_sub_i32 s32, s32, s31                                    // 000000002540: 81A01F20
	s_mov_b32 s14, s32                                         // 000000002544: BE8E0020
	s_add_u32 s12, s34, s24                                    // 000000002548: 800C1822
	s_addc_u32 s13, s35, s25                                   // 00000000254C: 820D1923
	s_mul_i32 s31, s52, 0x80                                   // 000000002550: 921FFF34 00000080
	s_mul_i32 s31, s2, s31                                     // 000000002558: 921F1F02
	s_mul_i32 s32, s3, s50                                     // 00000000255C: 92203203
	s_mul_i32 s33, s4, s51                                     // 000000002560: 92213304
	s_mul_hi_u32 s35, s4, s51                                  // 000000002564: 96233304
	s_add_u32 s53, s31, s32                                    // 000000002568: 8035201F
	s_add_u32 s53, s53, s33                                    // 00000000256C: 80352135
	s_addc_u32 s35, s35, 0                                     // 000000002570: 82238023
	s_mul_i32 s32, s39, s52                                    // 000000002574: 92203427
	s_sub_i32 s32, s32, s31                                    // 000000002578: 81A01F20
	s_mov_b32 s22, s32                                         // 00000000257C: BE960020
	s_add_u32 s20, s53, s28                                    // 000000002580: 80141C35
	s_addc_u32 s21, s35, s29                                   // 000000002584: 82151D23
	s_mul_i32 s31, s11, 0x80                                   // 000000002588: 921FFF0B 00000080
	s_mul_i32 s31, s2, s31                                     // 000000002590: 921F1F02
	s_mul_i32 s32, s3, s9                                      // 000000002594: 92200903
	s_add_u32 s35, s31, s32                                    // 000000002598: 8023201F
	s_mul_i32 s32, s39, s11                                    // 00000000259C: 92200B27
	s_sub_i32 s32, s32, s31                                    // 0000000025A0: 81A01F20
	s_mov_b32 s18, s32                                         // 0000000025A4: BE920020
	s_add_u32 s16, s35, s26                                    // 0000000025A8: 80101A23
	s_addc_u32 s17, 0, s27                                     // 0000000025AC: 82111B80
	s_mul_i32 s31, s4, s10                                     // 0000000025B0: 921F0A04
	s_mul_hi_u32 s32, s4, s10                                  // 0000000025B4: 96200A04
	s_and_b32 s32, s32, 0xffff                                 // 0000000025B8: 8620FF20 0000FFFF
	s_add_u32 s16, s16, s31                                    // 0000000025C0: 80101F10
	s_addc_u32 s17, s17, s32                                   // 0000000025C4: 82112011
	v_readfirstlane_b32 s30, v3                                // 0000000025C8: 7E3C0503
	v_lshrrev_b32_e32 v28, 3, v0                               // 0000000025CC: 20380083
	v_mul_i32_i24_e32 v28, s8, v28                             // 0000000025D0: 0C383808
	v_and_b32_e32 v29, 7, v0                                   // 0000000025D4: 263A0087
	v_mul_i32_i24_e32 v29, 16, v29                             // 0000000025D8: 0C3A3A90
	v_add_u32_e32 v29, v28, v29                                // 0000000025DC: 683A3B1C
	v_mov_b32_e32 v4, v29                                      // 0000000025E0: 7E08031D
	s_mul_i32 s31, 32, s8                                      // 0000000025E4: 921F08A0
	s_mul_i32 s31, s30, s31                                    // 0000000025E8: 921F1F1E
	v_add_u32_e32 v4, s31, v4                                  // 0000000025EC: 6808081F
	v_lshrrev_b32_e32 v28, 3, v0                               // 0000000025F0: 20380083
	v_mul_i32_i24_e32 v28, s52, v28                            // 0000000025F4: 0C383834
	v_and_b32_e32 v29, 7, v0                                   // 0000000025F8: 263A0087
	v_mul_i32_i24_e32 v29, 16, v29                             // 0000000025FC: 0C3A3A90
	v_add_u32_e32 v29, v28, v29                                // 000000002600: 683A3B1C
	v_mov_b32_e32 v37, v29                                     // 000000002604: 7E4A031D
	s_mul_i32 s31, 32, s52                                     // 000000002608: 921F34A0
	s_mul_i32 s31, s30, s31                                    // 00000000260C: 921F1F1E
	v_add_u32_e32 v37, s31, v37                                // 000000002610: 684A4A1F
	v_lshrrev_b32_e32 v5, 3, v0                                // 000000002614: 200A0083
	v_mul_i32_i24_e32 v5, s11, v5                              // 000000002618: 0C0A0A0B
	v_and_b32_e32 v28, 7, v0                                   // 00000000261C: 26380087
	v_lshrrev_b32_e32 v28, 1, v28                              // 000000002620: 20383881
	v_lshlrev_b32_e32 v28, 5, v28                              // 000000002624: 24383885
	v_add_u32_e32 v5, v5, v28                                  // 000000002628: 680A3905
	s_mul_i32 s31, 32, s11                                     // 00000000262C: 921F0BA0
	s_mul_i32 s31, s30, s31                                    // 000000002630: 921F1F1E
	v_add_u32_e32 v5, s31, v5                                  // 000000002634: 680A0A1F
	v_and_b32_e32 v28, 7, v0                                   // 000000002638: 26380087
	v_lshlrev_b32_e32 v28, 3, v28                              // 00000000263C: 24383883
	s_sub_i32 s31, s37, 64                                     // 000000002640: 819FC025
	v_cmp_lt_u32_e64 s[36:37], v28, s31                        // 000000002644: D0C90024 00003F1C
	v_and_b32_e32 v28, 1, v0                                   // 00000000264C: 26380081
	v_cmp_eq_u32_e64 s[38:39], v28, 0                          // 000000002650: D0CA0026 0001011C
	v_lshlrev_b32_e32 v24, 2, v0                               // 000000002658: 24300082
	s_lshl_b32 s31, s30, 8                                     // 00000000265C: 8E1F881E
	v_add_u32_e32 v24, s31, v24                                // 000000002660: 6830301F
	v_lshrrev_b32_e32 v26, 3, v0                               // 000000002664: 20340083
	v_mul_i32_i24_e32 v26, 32, v26                             // 000000002668: 0C3434A0
	v_add_u32_e32 v26, s31, v26                                // 00000000266C: 6834341F
	v_add_u32_e32 v27, 16, v26                                 // 000000002670: 68363490
	v_mov_b32_e32 v22, 0                                       // 000000002674: 7E2C0280
	s_mul_i32 s31, s8, 0                                       // 000000002678: 921F8008
	s_lshl_b32 s31, s31, 3                                     // 00000000267C: 8E1F831F
	v_add_u32_e32 v23, s31, v4                                 // 000000002680: 682E081F
	s_mul_i32 s31, s52, 0                                      // 000000002684: 921F8034
	s_lshl_b32 s31, s31, 3                                     // 000000002688: 8E1F831F
	v_add_u32_e32 v38, s31, v37                                // 00000000268C: 684C4A1F
	v_and_b32_e32 v36, 7, v0                                   // 000000002690: 26480087
	v_cmp_eq_u32_e64 s[48:49], v36, 0                          // 000000002694: D0CA0030 00010124
	buffer_load_dwordx4 v[14:17], v38, s[20:23], 0 offen       // 00000000269C: E05C1000 80050E26
	buffer_load_dwordx4 v[6:9], v23, s[12:15], 0 offen         // 0000000026A4: E05C1000 80030617
	v_add_u32_e32 v23, 0x80, v23                               // 0000000026AC: 682E2EFF 00000080
	v_add_u32_e32 v38, 0x80, v38                               // 0000000026B4: 684C4CFF 00000080
	s_waitcnt vmcnt(0) expcnt(0) lgkmcnt(0)                    // 0000000026BC: BF8C0000
	s_barrier                                                  // 0000000026C0: BF8A0000
	v_mov_b32_e32 v18, 0                                       // 0000000026C4: 7E240280
	v_mov_b32_e32 v10, 0                                       // 0000000026C8: 7E140280
	v_mov_b32_e32 v19, 0                                       // 0000000026CC: 7E260280
	v_mov_b32_e32 v11, 0                                       // 0000000026D0: 7E160280
	v_mov_b32_e32 v20, 0                                       // 0000000026D4: 7E280280
	v_mov_b32_e32 v12, 0                                       // 0000000026D8: 7E180280
	v_mov_b32_e32 v21, 0                                       // 0000000026DC: 7E2A0280
	v_mov_b32_e32 v13, 0                                       // 0000000026E0: 7E1A0280
	s_mov_b64 exec, s[36:37]                                   // 0000000026E4: BEFE0124
	buffer_load_dwordx4 v[18:21], v38, s[20:23], 0 offen       // 0000000026E8: E05C1000 80051226
	buffer_load_dwordx4 v[10:13], v23, s[12:15], 0 offen       // 0000000026F0: E05C1000 80030A17
	s_mov_b64 exec, -1                                         // 0000000026F8: BEFE01C1
	v_add_u32_e32 v23, 0x80, v23                               // 0000000026FC: 682E2EFF 00000080
	v_add_u32_e32 v38, 0x80, v38                               // 000000002704: 684C4CFF 00000080
	v_mov_b32_e32 v32, 0                                       // 00000000270C: 7E400280
	v_and_b32_e32 v28, 0xffff, v6                              // 000000002710: 26380CFF 0000FFFF
	v_lshrrev_b32_e32 v29, 16, v6                              // 000000002718: 203A0C90
	v_and_b32_e32 v30, 0xffff, v14                             // 00000000271C: 263C1CFF 0000FFFF
	v_lshrrev_b32_e32 v31, 16, v14                             // 000000002724: 203E1C90
	v_cvt_f32_bf16_e32 v28, v28                                // 000000002728: 7E38B71C
	v_cvt_f32_bf16_e32 v30, v30                                // 00000000272C: 7E3CB71E
	v_cvt_f32_bf16_e32 v29, v29                                // 000000002730: 7E3AB71D
	v_cvt_f32_bf16_e32 v31, v31                                // 000000002734: 7E3EB71F
	v_fma_f32 v32, v28, v30, v32                               // 000000002738: D1CB0020 04823D1C
	v_fma_f32 v32, v29, v31, v32                               // 000000002740: D1CB0020 04823F1D
	v_and_b32_e32 v28, 0xffff, v7                              // 000000002748: 26380EFF 0000FFFF
	v_lshrrev_b32_e32 v29, 16, v7                              // 000000002750: 203A0E90
	v_and_b32_e32 v30, 0xffff, v15                             // 000000002754: 263C1EFF 0000FFFF
	v_lshrrev_b32_e32 v31, 16, v15                             // 00000000275C: 203E1E90
	v_cvt_f32_bf16_e32 v28, v28                                // 000000002760: 7E38B71C
	v_cvt_f32_bf16_e32 v30, v30                                // 000000002764: 7E3CB71E
	v_cvt_f32_bf16_e32 v29, v29                                // 000000002768: 7E3AB71D
	v_cvt_f32_bf16_e32 v31, v31                                // 00000000276C: 7E3EB71F
	v_fma_f32 v32, v28, v30, v32                               // 000000002770: D1CB0020 04823D1C
	v_fma_f32 v32, v29, v31, v32                               // 000000002778: D1CB0020 04823F1D
	v_and_b32_e32 v28, 0xffff, v8                              // 000000002780: 263810FF 0000FFFF
	v_lshrrev_b32_e32 v29, 16, v8                              // 000000002788: 203A1090
	v_and_b32_e32 v30, 0xffff, v16                             // 00000000278C: 263C20FF 0000FFFF
	v_lshrrev_b32_e32 v31, 16, v16                             // 000000002794: 203E2090
	v_cvt_f32_bf16_e32 v28, v28                                // 000000002798: 7E38B71C
	v_cvt_f32_bf16_e32 v30, v30                                // 00000000279C: 7E3CB71E
	v_cvt_f32_bf16_e32 v29, v29                                // 0000000027A0: 7E3AB71D
	v_cvt_f32_bf16_e32 v31, v31                                // 0000000027A4: 7E3EB71F
	v_fma_f32 v32, v28, v30, v32                               // 0000000027A8: D1CB0020 04823D1C
	v_fma_f32 v32, v29, v31, v32                               // 0000000027B0: D1CB0020 04823F1D
	v_and_b32_e32 v28, 0xffff, v9                              // 0000000027B8: 263812FF 0000FFFF
	v_lshrrev_b32_e32 v29, 16, v9                              // 0000000027C0: 203A1290
	v_and_b32_e32 v30, 0xffff, v17                             // 0000000027C4: 263C22FF 0000FFFF
	v_lshrrev_b32_e32 v31, 16, v17                             // 0000000027CC: 203E2290
	v_cvt_f32_bf16_e32 v28, v28                                // 0000000027D0: 7E38B71C
	v_cvt_f32_bf16_e32 v30, v30                                // 0000000027D4: 7E3CB71E
	v_cvt_f32_bf16_e32 v29, v29                                // 0000000027D8: 7E3AB71D
	v_cvt_f32_bf16_e32 v31, v31                                // 0000000027DC: 7E3EB71F
	v_fma_f32 v32, v28, v30, v32                               // 0000000027E0: D1CB0020 04823D1C
	v_fma_f32 v32, v29, v31, v32                               // 0000000027E8: D1CB0020 04823F1D
	ds_write_b32 v24, v32                                      // 0000000027F0: D81A0000 00002018
	s_waitcnt lgkmcnt(0)                                       // 0000000027F8: BF8CC07F
	s_mov_b64 exec, s[48:49]                                   // 0000000027FC: BEFE0130
	ds_read_b128 v[28:31], v26                                 // 000000002800: D9FE0000 1C00001A
	s_waitcnt lgkmcnt(0)                                       // 000000002808: BF8CC07F
	ds_read_b128 v[32:35], v27                                 // 00000000280C: D9FE0000 2000001B
	s_waitcnt lgkmcnt(0)                                       // 000000002814: BF8CC07F
	v_add_f32_e32 v22, v28, v22                                // 000000002818: 022C2D1C
	v_add_f32_e32 v22, v29, v22                                // 00000000281C: 022C2D1D
	v_add_f32_e32 v22, v30, v22                                // 000000002820: 022C2D1E
	v_add_f32_e32 v22, v31, v22                                // 000000002824: 022C2D1F
	v_add_f32_e32 v22, v32, v22                                // 000000002828: 022C2D20
	v_add_f32_e32 v22, v33, v22                                // 00000000282C: 022C2D21
	v_add_f32_e32 v22, v34, v22                                // 000000002830: 022C2D22
	v_add_f32_e32 v22, v35, v22                                // 000000002834: 022C2D23
	s_mov_b64 exec, -1                                         // 000000002838: BEFE01C1
	s_waitcnt vmcnt(0) expcnt(0) lgkmcnt(0)                    // 00000000283C: BF8C0000
	s_barrier                                                  // 000000002840: BF8A0000
	v_mov_b32_e32 v32, 0                                       // 000000002844: 7E400280
	v_and_b32_e32 v28, 0xffff, v10                             // 000000002848: 263814FF 0000FFFF
	v_lshrrev_b32_e32 v29, 16, v10                             // 000000002850: 203A1490
	v_and_b32_e32 v30, 0xffff, v18                             // 000000002854: 263C24FF 0000FFFF
	v_lshrrev_b32_e32 v31, 16, v18                             // 00000000285C: 203E2490
	v_cvt_f32_bf16_e32 v28, v28                                // 000000002860: 7E38B71C
	v_cvt_f32_bf16_e32 v30, v30                                // 000000002864: 7E3CB71E
	v_cvt_f32_bf16_e32 v29, v29                                // 000000002868: 7E3AB71D
	v_cvt_f32_bf16_e32 v31, v31                                // 00000000286C: 7E3EB71F
	v_fma_f32 v32, v28, v30, v32                               // 000000002870: D1CB0020 04823D1C
	v_fma_f32 v32, v29, v31, v32                               // 000000002878: D1CB0020 04823F1D
	v_and_b32_e32 v28, 0xffff, v11                             // 000000002880: 263816FF 0000FFFF
	v_lshrrev_b32_e32 v29, 16, v11                             // 000000002888: 203A1690
	v_and_b32_e32 v30, 0xffff, v19                             // 00000000288C: 263C26FF 0000FFFF
	v_lshrrev_b32_e32 v31, 16, v19                             // 000000002894: 203E2690
	v_cvt_f32_bf16_e32 v28, v28                                // 000000002898: 7E38B71C
	v_cvt_f32_bf16_e32 v30, v30                                // 00000000289C: 7E3CB71E
	v_cvt_f32_bf16_e32 v29, v29                                // 0000000028A0: 7E3AB71D
	v_cvt_f32_bf16_e32 v31, v31                                // 0000000028A4: 7E3EB71F
	v_fma_f32 v32, v28, v30, v32                               // 0000000028A8: D1CB0020 04823D1C
	v_fma_f32 v32, v29, v31, v32                               // 0000000028B0: D1CB0020 04823F1D
	v_and_b32_e32 v28, 0xffff, v12                             // 0000000028B8: 263818FF 0000FFFF
	v_lshrrev_b32_e32 v29, 16, v12                             // 0000000028C0: 203A1890
	v_and_b32_e32 v30, 0xffff, v20                             // 0000000028C4: 263C28FF 0000FFFF
	v_lshrrev_b32_e32 v31, 16, v20                             // 0000000028CC: 203E2890
	v_cvt_f32_bf16_e32 v28, v28                                // 0000000028D0: 7E38B71C
	v_cvt_f32_bf16_e32 v30, v30                                // 0000000028D4: 7E3CB71E
	v_cvt_f32_bf16_e32 v29, v29                                // 0000000028D8: 7E3AB71D
	v_cvt_f32_bf16_e32 v31, v31                                // 0000000028DC: 7E3EB71F
	v_fma_f32 v32, v28, v30, v32                               // 0000000028E0: D1CB0020 04823D1C
	v_fma_f32 v32, v29, v31, v32                               // 0000000028E8: D1CB0020 04823F1D
	v_and_b32_e32 v28, 0xffff, v13                             // 0000000028F0: 26381AFF 0000FFFF
	v_lshrrev_b32_e32 v29, 16, v13                             // 0000000028F8: 203A1A90
	v_and_b32_e32 v30, 0xffff, v21                             // 0000000028FC: 263C2AFF 0000FFFF
	v_lshrrev_b32_e32 v31, 16, v21                             // 000000002904: 203E2A90
	v_cvt_f32_bf16_e32 v28, v28                                // 000000002908: 7E38B71C
	v_cvt_f32_bf16_e32 v30, v30                                // 00000000290C: 7E3CB71E
	v_cvt_f32_bf16_e32 v29, v29                                // 000000002910: 7E3AB71D
	v_cvt_f32_bf16_e32 v31, v31                                // 000000002914: 7E3EB71F
	v_fma_f32 v32, v28, v30, v32                               // 000000002918: D1CB0020 04823D1C
	v_fma_f32 v32, v29, v31, v32                               // 000000002920: D1CB0020 04823F1D
	ds_write_b32 v24, v32                                      // 000000002928: D81A0000 00002018
	s_waitcnt lgkmcnt(0)                                       // 000000002930: BF8CC07F
	s_mov_b64 exec, s[48:49]                                   // 000000002934: BEFE0130
	ds_read_b128 v[28:31], v26                                 // 000000002938: D9FE0000 1C00001A
	s_waitcnt lgkmcnt(0)                                       // 000000002940: BF8CC07F
	ds_read_b128 v[32:35], v27                                 // 000000002944: D9FE0000 2000001B
	s_waitcnt lgkmcnt(0)                                       // 00000000294C: BF8CC07F
	v_add_f32_e32 v22, v28, v22                                // 000000002950: 022C2D1C
	v_add_f32_e32 v22, v29, v22                                // 000000002954: 022C2D1D
	v_add_f32_e32 v22, v30, v22                                // 000000002958: 022C2D1E
	v_add_f32_e32 v22, v31, v22                                // 00000000295C: 022C2D1F
	v_add_f32_e32 v22, v32, v22                                // 000000002960: 022C2D20
	v_add_f32_e32 v22, v33, v22                                // 000000002964: 022C2D21
	v_add_f32_e32 v22, v34, v22                                // 000000002968: 022C2D22
	v_add_f32_e32 v22, v35, v22                                // 00000000296C: 022C2D23
	s_mov_b64 exec, -1                                         // 000000002970: BEFE01C1
	s_mul_i32 s31, s8, 1                                       // 000000002974: 921F8108
	s_lshl_b32 s31, s31, 3                                     // 000000002978: 8E1F831F
	v_add_u32_e32 v23, s31, v4                                 // 00000000297C: 682E081F
	s_mul_i32 s31, s52, 1                                      // 000000002980: 921F8134
	s_lshl_b32 s31, s31, 3                                     // 000000002984: 8E1F831F
	v_add_u32_e32 v38, s31, v37                                // 000000002988: 684C4A1F
	v_and_b32_e32 v36, 7, v0                                   // 00000000298C: 26480087
	v_cmp_eq_u32_e64 s[48:49], v36, 2                          // 000000002990: D0CA0030 00010524
	buffer_load_dwordx4 v[14:17], v38, s[20:23], 0 offen       // 000000002998: E05C1000 80050E26
	buffer_load_dwordx4 v[6:9], v23, s[12:15], 0 offen         // 0000000029A0: E05C1000 80030617
	v_add_u32_e32 v23, 0x80, v23                               // 0000000029A8: 682E2EFF 00000080
	v_add_u32_e32 v38, 0x80, v38                               // 0000000029B0: 684C4CFF 00000080
	s_waitcnt vmcnt(0) expcnt(0) lgkmcnt(0)                    // 0000000029B8: BF8C0000
	s_barrier                                                  // 0000000029BC: BF8A0000
	v_mov_b32_e32 v18, 0                                       // 0000000029C0: 7E240280
	v_mov_b32_e32 v10, 0                                       // 0000000029C4: 7E140280
	v_mov_b32_e32 v19, 0                                       // 0000000029C8: 7E260280
	v_mov_b32_e32 v11, 0                                       // 0000000029CC: 7E160280
	v_mov_b32_e32 v20, 0                                       // 0000000029D0: 7E280280
	v_mov_b32_e32 v12, 0                                       // 0000000029D4: 7E180280
	v_mov_b32_e32 v21, 0                                       // 0000000029D8: 7E2A0280
	v_mov_b32_e32 v13, 0                                       // 0000000029DC: 7E1A0280
	s_mov_b64 exec, s[36:37]                                   // 0000000029E0: BEFE0124
	buffer_load_dwordx4 v[18:21], v38, s[20:23], 0 offen       // 0000000029E4: E05C1000 80051226
	buffer_load_dwordx4 v[10:13], v23, s[12:15], 0 offen       // 0000000029EC: E05C1000 80030A17
	s_mov_b64 exec, -1                                         // 0000000029F4: BEFE01C1
	v_add_u32_e32 v23, 0x80, v23                               // 0000000029F8: 682E2EFF 00000080
	v_add_u32_e32 v38, 0x80, v38                               // 000000002A00: 684C4CFF 00000080
	v_mov_b32_e32 v32, 0                                       // 000000002A08: 7E400280
	v_and_b32_e32 v28, 0xffff, v6                              // 000000002A0C: 26380CFF 0000FFFF
	v_lshrrev_b32_e32 v29, 16, v6                              // 000000002A14: 203A0C90
	v_and_b32_e32 v30, 0xffff, v14                             // 000000002A18: 263C1CFF 0000FFFF
	v_lshrrev_b32_e32 v31, 16, v14                             // 000000002A20: 203E1C90
	v_cvt_f32_bf16_e32 v28, v28                                // 000000002A24: 7E38B71C
	v_cvt_f32_bf16_e32 v30, v30                                // 000000002A28: 7E3CB71E
	v_cvt_f32_bf16_e32 v29, v29                                // 000000002A2C: 7E3AB71D
	v_cvt_f32_bf16_e32 v31, v31                                // 000000002A30: 7E3EB71F
	v_fma_f32 v32, v28, v30, v32                               // 000000002A34: D1CB0020 04823D1C
	v_fma_f32 v32, v29, v31, v32                               // 000000002A3C: D1CB0020 04823F1D
	v_and_b32_e32 v28, 0xffff, v7                              // 000000002A44: 26380EFF 0000FFFF
	v_lshrrev_b32_e32 v29, 16, v7                              // 000000002A4C: 203A0E90
	v_and_b32_e32 v30, 0xffff, v15                             // 000000002A50: 263C1EFF 0000FFFF
	v_lshrrev_b32_e32 v31, 16, v15                             // 000000002A58: 203E1E90
	v_cvt_f32_bf16_e32 v28, v28                                // 000000002A5C: 7E38B71C
	v_cvt_f32_bf16_e32 v30, v30                                // 000000002A60: 7E3CB71E
	v_cvt_f32_bf16_e32 v29, v29                                // 000000002A64: 7E3AB71D
	v_cvt_f32_bf16_e32 v31, v31                                // 000000002A68: 7E3EB71F
	v_fma_f32 v32, v28, v30, v32                               // 000000002A6C: D1CB0020 04823D1C
	v_fma_f32 v32, v29, v31, v32                               // 000000002A74: D1CB0020 04823F1D
	v_and_b32_e32 v28, 0xffff, v8                              // 000000002A7C: 263810FF 0000FFFF
	v_lshrrev_b32_e32 v29, 16, v8                              // 000000002A84: 203A1090
	v_and_b32_e32 v30, 0xffff, v16                             // 000000002A88: 263C20FF 0000FFFF
	v_lshrrev_b32_e32 v31, 16, v16                             // 000000002A90: 203E2090
	v_cvt_f32_bf16_e32 v28, v28                                // 000000002A94: 7E38B71C
	v_cvt_f32_bf16_e32 v30, v30                                // 000000002A98: 7E3CB71E
	v_cvt_f32_bf16_e32 v29, v29                                // 000000002A9C: 7E3AB71D
	v_cvt_f32_bf16_e32 v31, v31                                // 000000002AA0: 7E3EB71F
	v_fma_f32 v32, v28, v30, v32                               // 000000002AA4: D1CB0020 04823D1C
	v_fma_f32 v32, v29, v31, v32                               // 000000002AAC: D1CB0020 04823F1D
	v_and_b32_e32 v28, 0xffff, v9                              // 000000002AB4: 263812FF 0000FFFF
	v_lshrrev_b32_e32 v29, 16, v9                              // 000000002ABC: 203A1290
	v_and_b32_e32 v30, 0xffff, v17                             // 000000002AC0: 263C22FF 0000FFFF
	v_lshrrev_b32_e32 v31, 16, v17                             // 000000002AC8: 203E2290
	v_cvt_f32_bf16_e32 v28, v28                                // 000000002ACC: 7E38B71C
	v_cvt_f32_bf16_e32 v30, v30                                // 000000002AD0: 7E3CB71E
	v_cvt_f32_bf16_e32 v29, v29                                // 000000002AD4: 7E3AB71D
	v_cvt_f32_bf16_e32 v31, v31                                // 000000002AD8: 7E3EB71F
	v_fma_f32 v32, v28, v30, v32                               // 000000002ADC: D1CB0020 04823D1C
	v_fma_f32 v32, v29, v31, v32                               // 000000002AE4: D1CB0020 04823F1D
	ds_write_b32 v24, v32                                      // 000000002AEC: D81A0000 00002018
	s_waitcnt lgkmcnt(0)                                       // 000000002AF4: BF8CC07F
	s_mov_b64 exec, s[48:49]                                   // 000000002AF8: BEFE0130
	ds_read_b128 v[28:31], v26                                 // 000000002AFC: D9FE0000 1C00001A
	s_waitcnt lgkmcnt(0)                                       // 000000002B04: BF8CC07F
	ds_read_b128 v[32:35], v27                                 // 000000002B08: D9FE0000 2000001B
	s_waitcnt lgkmcnt(0)                                       // 000000002B10: BF8CC07F
	v_add_f32_e32 v22, v28, v22                                // 000000002B14: 022C2D1C
	v_add_f32_e32 v22, v29, v22                                // 000000002B18: 022C2D1D
	v_add_f32_e32 v22, v30, v22                                // 000000002B1C: 022C2D1E
	v_add_f32_e32 v22, v31, v22                                // 000000002B20: 022C2D1F
	v_add_f32_e32 v22, v32, v22                                // 000000002B24: 022C2D20
	v_add_f32_e32 v22, v33, v22                                // 000000002B28: 022C2D21
	v_add_f32_e32 v22, v34, v22                                // 000000002B2C: 022C2D22
	v_add_f32_e32 v22, v35, v22                                // 000000002B30: 022C2D23
	s_mov_b64 exec, -1                                         // 000000002B34: BEFE01C1
	s_waitcnt vmcnt(0) expcnt(0) lgkmcnt(0)                    // 000000002B38: BF8C0000
	s_barrier                                                  // 000000002B3C: BF8A0000
	v_mov_b32_e32 v32, 0                                       // 000000002B40: 7E400280
	v_and_b32_e32 v28, 0xffff, v10                             // 000000002B44: 263814FF 0000FFFF
	v_lshrrev_b32_e32 v29, 16, v10                             // 000000002B4C: 203A1490
	v_and_b32_e32 v30, 0xffff, v18                             // 000000002B50: 263C24FF 0000FFFF
	v_lshrrev_b32_e32 v31, 16, v18                             // 000000002B58: 203E2490
	v_cvt_f32_bf16_e32 v28, v28                                // 000000002B5C: 7E38B71C
	v_cvt_f32_bf16_e32 v30, v30                                // 000000002B60: 7E3CB71E
	v_cvt_f32_bf16_e32 v29, v29                                // 000000002B64: 7E3AB71D
	v_cvt_f32_bf16_e32 v31, v31                                // 000000002B68: 7E3EB71F
	v_fma_f32 v32, v28, v30, v32                               // 000000002B6C: D1CB0020 04823D1C
	v_fma_f32 v32, v29, v31, v32                               // 000000002B74: D1CB0020 04823F1D
	v_and_b32_e32 v28, 0xffff, v11                             // 000000002B7C: 263816FF 0000FFFF
	v_lshrrev_b32_e32 v29, 16, v11                             // 000000002B84: 203A1690
	v_and_b32_e32 v30, 0xffff, v19                             // 000000002B88: 263C26FF 0000FFFF
	v_lshrrev_b32_e32 v31, 16, v19                             // 000000002B90: 203E2690
	v_cvt_f32_bf16_e32 v28, v28                                // 000000002B94: 7E38B71C
	v_cvt_f32_bf16_e32 v30, v30                                // 000000002B98: 7E3CB71E
	v_cvt_f32_bf16_e32 v29, v29                                // 000000002B9C: 7E3AB71D
	v_cvt_f32_bf16_e32 v31, v31                                // 000000002BA0: 7E3EB71F
	v_fma_f32 v32, v28, v30, v32                               // 000000002BA4: D1CB0020 04823D1C
	v_fma_f32 v32, v29, v31, v32                               // 000000002BAC: D1CB0020 04823F1D
	v_and_b32_e32 v28, 0xffff, v12                             // 000000002BB4: 263818FF 0000FFFF
	v_lshrrev_b32_e32 v29, 16, v12                             // 000000002BBC: 203A1890
	v_and_b32_e32 v30, 0xffff, v20                             // 000000002BC0: 263C28FF 0000FFFF
	v_lshrrev_b32_e32 v31, 16, v20                             // 000000002BC8: 203E2890
	v_cvt_f32_bf16_e32 v28, v28                                // 000000002BCC: 7E38B71C
	v_cvt_f32_bf16_e32 v30, v30                                // 000000002BD0: 7E3CB71E
	v_cvt_f32_bf16_e32 v29, v29                                // 000000002BD4: 7E3AB71D
	v_cvt_f32_bf16_e32 v31, v31                                // 000000002BD8: 7E3EB71F
	v_fma_f32 v32, v28, v30, v32                               // 000000002BDC: D1CB0020 04823D1C
	v_fma_f32 v32, v29, v31, v32                               // 000000002BE4: D1CB0020 04823F1D
	v_and_b32_e32 v28, 0xffff, v13                             // 000000002BEC: 26381AFF 0000FFFF
	v_lshrrev_b32_e32 v29, 16, v13                             // 000000002BF4: 203A1A90
	v_and_b32_e32 v30, 0xffff, v21                             // 000000002BF8: 263C2AFF 0000FFFF
	v_lshrrev_b32_e32 v31, 16, v21                             // 000000002C00: 203E2A90
	v_cvt_f32_bf16_e32 v28, v28                                // 000000002C04: 7E38B71C
	v_cvt_f32_bf16_e32 v30, v30                                // 000000002C08: 7E3CB71E
	v_cvt_f32_bf16_e32 v29, v29                                // 000000002C0C: 7E3AB71D
	v_cvt_f32_bf16_e32 v31, v31                                // 000000002C10: 7E3EB71F
	v_fma_f32 v32, v28, v30, v32                               // 000000002C14: D1CB0020 04823D1C
	v_fma_f32 v32, v29, v31, v32                               // 000000002C1C: D1CB0020 04823F1D
	ds_write_b32 v24, v32                                      // 000000002C24: D81A0000 00002018
	s_waitcnt lgkmcnt(0)                                       // 000000002C2C: BF8CC07F
	s_mov_b64 exec, s[48:49]                                   // 000000002C30: BEFE0130
	ds_read_b128 v[28:31], v26                                 // 000000002C34: D9FE0000 1C00001A
	s_waitcnt lgkmcnt(0)                                       // 000000002C3C: BF8CC07F
	ds_read_b128 v[32:35], v27                                 // 000000002C40: D9FE0000 2000001B
	s_waitcnt lgkmcnt(0)                                       // 000000002C48: BF8CC07F
	v_add_f32_e32 v22, v28, v22                                // 000000002C4C: 022C2D1C
	v_add_f32_e32 v22, v29, v22                                // 000000002C50: 022C2D1D
	v_add_f32_e32 v22, v30, v22                                // 000000002C54: 022C2D1E
	v_add_f32_e32 v22, v31, v22                                // 000000002C58: 022C2D1F
	v_add_f32_e32 v22, v32, v22                                // 000000002C5C: 022C2D20
	v_add_f32_e32 v22, v33, v22                                // 000000002C60: 022C2D21
	v_add_f32_e32 v22, v34, v22                                // 000000002C64: 022C2D22
	v_add_f32_e32 v22, v35, v22                                // 000000002C68: 022C2D23
	s_mov_b64 exec, -1                                         // 000000002C6C: BEFE01C1
	s_mul_i32 s31, s8, 2                                       // 000000002C70: 921F8208
	s_lshl_b32 s31, s31, 3                                     // 000000002C74: 8E1F831F
	v_add_u32_e32 v23, s31, v4                                 // 000000002C78: 682E081F
	s_mul_i32 s31, s52, 2                                      // 000000002C7C: 921F8234
	s_lshl_b32 s31, s31, 3                                     // 000000002C80: 8E1F831F
	v_add_u32_e32 v38, s31, v37                                // 000000002C84: 684C4A1F
	v_and_b32_e32 v36, 7, v0                                   // 000000002C88: 26480087
	v_cmp_eq_u32_e64 s[48:49], v36, 4                          // 000000002C8C: D0CA0030 00010924
	buffer_load_dwordx4 v[14:17], v38, s[20:23], 0 offen       // 000000002C94: E05C1000 80050E26
	buffer_load_dwordx4 v[6:9], v23, s[12:15], 0 offen         // 000000002C9C: E05C1000 80030617
	v_add_u32_e32 v23, 0x80, v23                               // 000000002CA4: 682E2EFF 00000080
	v_add_u32_e32 v38, 0x80, v38                               // 000000002CAC: 684C4CFF 00000080
	s_waitcnt vmcnt(0) expcnt(0) lgkmcnt(0)                    // 000000002CB4: BF8C0000
	s_barrier                                                  // 000000002CB8: BF8A0000
	v_mov_b32_e32 v18, 0                                       // 000000002CBC: 7E240280
	v_mov_b32_e32 v10, 0                                       // 000000002CC0: 7E140280
	v_mov_b32_e32 v19, 0                                       // 000000002CC4: 7E260280
	v_mov_b32_e32 v11, 0                                       // 000000002CC8: 7E160280
	v_mov_b32_e32 v20, 0                                       // 000000002CCC: 7E280280
	v_mov_b32_e32 v12, 0                                       // 000000002CD0: 7E180280
	v_mov_b32_e32 v21, 0                                       // 000000002CD4: 7E2A0280
	v_mov_b32_e32 v13, 0                                       // 000000002CD8: 7E1A0280
	s_mov_b64 exec, s[36:37]                                   // 000000002CDC: BEFE0124
	buffer_load_dwordx4 v[18:21], v38, s[20:23], 0 offen       // 000000002CE0: E05C1000 80051226
	buffer_load_dwordx4 v[10:13], v23, s[12:15], 0 offen       // 000000002CE8: E05C1000 80030A17
	s_mov_b64 exec, -1                                         // 000000002CF0: BEFE01C1
	v_add_u32_e32 v23, 0x80, v23                               // 000000002CF4: 682E2EFF 00000080
	v_add_u32_e32 v38, 0x80, v38                               // 000000002CFC: 684C4CFF 00000080
	v_mov_b32_e32 v32, 0                                       // 000000002D04: 7E400280
	v_and_b32_e32 v28, 0xffff, v6                              // 000000002D08: 26380CFF 0000FFFF
	v_lshrrev_b32_e32 v29, 16, v6                              // 000000002D10: 203A0C90
	v_and_b32_e32 v30, 0xffff, v14                             // 000000002D14: 263C1CFF 0000FFFF
	v_lshrrev_b32_e32 v31, 16, v14                             // 000000002D1C: 203E1C90
	v_cvt_f32_bf16_e32 v28, v28                                // 000000002D20: 7E38B71C
	v_cvt_f32_bf16_e32 v30, v30                                // 000000002D24: 7E3CB71E
	v_cvt_f32_bf16_e32 v29, v29                                // 000000002D28: 7E3AB71D
	v_cvt_f32_bf16_e32 v31, v31                                // 000000002D2C: 7E3EB71F
	v_fma_f32 v32, v28, v30, v32                               // 000000002D30: D1CB0020 04823D1C
	v_fma_f32 v32, v29, v31, v32                               // 000000002D38: D1CB0020 04823F1D
	v_and_b32_e32 v28, 0xffff, v7                              // 000000002D40: 26380EFF 0000FFFF
	v_lshrrev_b32_e32 v29, 16, v7                              // 000000002D48: 203A0E90
	v_and_b32_e32 v30, 0xffff, v15                             // 000000002D4C: 263C1EFF 0000FFFF
	v_lshrrev_b32_e32 v31, 16, v15                             // 000000002D54: 203E1E90
	v_cvt_f32_bf16_e32 v28, v28                                // 000000002D58: 7E38B71C
	v_cvt_f32_bf16_e32 v30, v30                                // 000000002D5C: 7E3CB71E
	v_cvt_f32_bf16_e32 v29, v29                                // 000000002D60: 7E3AB71D
	v_cvt_f32_bf16_e32 v31, v31                                // 000000002D64: 7E3EB71F
	v_fma_f32 v32, v28, v30, v32                               // 000000002D68: D1CB0020 04823D1C
	v_fma_f32 v32, v29, v31, v32                               // 000000002D70: D1CB0020 04823F1D
	v_and_b32_e32 v28, 0xffff, v8                              // 000000002D78: 263810FF 0000FFFF
	v_lshrrev_b32_e32 v29, 16, v8                              // 000000002D80: 203A1090
	v_and_b32_e32 v30, 0xffff, v16                             // 000000002D84: 263C20FF 0000FFFF
	v_lshrrev_b32_e32 v31, 16, v16                             // 000000002D8C: 203E2090
	v_cvt_f32_bf16_e32 v28, v28                                // 000000002D90: 7E38B71C
	v_cvt_f32_bf16_e32 v30, v30                                // 000000002D94: 7E3CB71E
	v_cvt_f32_bf16_e32 v29, v29                                // 000000002D98: 7E3AB71D
	v_cvt_f32_bf16_e32 v31, v31                                // 000000002D9C: 7E3EB71F
	v_fma_f32 v32, v28, v30, v32                               // 000000002DA0: D1CB0020 04823D1C
	v_fma_f32 v32, v29, v31, v32                               // 000000002DA8: D1CB0020 04823F1D
	v_and_b32_e32 v28, 0xffff, v9                              // 000000002DB0: 263812FF 0000FFFF
	v_lshrrev_b32_e32 v29, 16, v9                              // 000000002DB8: 203A1290
	v_and_b32_e32 v30, 0xffff, v17                             // 000000002DBC: 263C22FF 0000FFFF
	v_lshrrev_b32_e32 v31, 16, v17                             // 000000002DC4: 203E2290
	v_cvt_f32_bf16_e32 v28, v28                                // 000000002DC8: 7E38B71C
	v_cvt_f32_bf16_e32 v30, v30                                // 000000002DCC: 7E3CB71E
	v_cvt_f32_bf16_e32 v29, v29                                // 000000002DD0: 7E3AB71D
	v_cvt_f32_bf16_e32 v31, v31                                // 000000002DD4: 7E3EB71F
	v_fma_f32 v32, v28, v30, v32                               // 000000002DD8: D1CB0020 04823D1C
	v_fma_f32 v32, v29, v31, v32                               // 000000002DE0: D1CB0020 04823F1D
	ds_write_b32 v24, v32                                      // 000000002DE8: D81A0000 00002018
	s_waitcnt lgkmcnt(0)                                       // 000000002DF0: BF8CC07F
	s_mov_b64 exec, s[48:49]                                   // 000000002DF4: BEFE0130
	ds_read_b128 v[28:31], v26                                 // 000000002DF8: D9FE0000 1C00001A
	s_waitcnt lgkmcnt(0)                                       // 000000002E00: BF8CC07F
	ds_read_b128 v[32:35], v27                                 // 000000002E04: D9FE0000 2000001B
	s_waitcnt lgkmcnt(0)                                       // 000000002E0C: BF8CC07F
	v_add_f32_e32 v22, v28, v22                                // 000000002E10: 022C2D1C
	v_add_f32_e32 v22, v29, v22                                // 000000002E14: 022C2D1D
	v_add_f32_e32 v22, v30, v22                                // 000000002E18: 022C2D1E
	v_add_f32_e32 v22, v31, v22                                // 000000002E1C: 022C2D1F
	v_add_f32_e32 v22, v32, v22                                // 000000002E20: 022C2D20
	v_add_f32_e32 v22, v33, v22                                // 000000002E24: 022C2D21
	v_add_f32_e32 v22, v34, v22                                // 000000002E28: 022C2D22
	v_add_f32_e32 v22, v35, v22                                // 000000002E2C: 022C2D23
	s_mov_b64 exec, -1                                         // 000000002E30: BEFE01C1
	s_waitcnt vmcnt(0) expcnt(0) lgkmcnt(0)                    // 000000002E34: BF8C0000
	s_barrier                                                  // 000000002E38: BF8A0000
	v_mov_b32_e32 v32, 0                                       // 000000002E3C: 7E400280
	v_and_b32_e32 v28, 0xffff, v10                             // 000000002E40: 263814FF 0000FFFF
	v_lshrrev_b32_e32 v29, 16, v10                             // 000000002E48: 203A1490
	v_and_b32_e32 v30, 0xffff, v18                             // 000000002E4C: 263C24FF 0000FFFF
	v_lshrrev_b32_e32 v31, 16, v18                             // 000000002E54: 203E2490
	v_cvt_f32_bf16_e32 v28, v28                                // 000000002E58: 7E38B71C
	v_cvt_f32_bf16_e32 v30, v30                                // 000000002E5C: 7E3CB71E
	v_cvt_f32_bf16_e32 v29, v29                                // 000000002E60: 7E3AB71D
	v_cvt_f32_bf16_e32 v31, v31                                // 000000002E64: 7E3EB71F
	v_fma_f32 v32, v28, v30, v32                               // 000000002E68: D1CB0020 04823D1C
	v_fma_f32 v32, v29, v31, v32                               // 000000002E70: D1CB0020 04823F1D
	v_and_b32_e32 v28, 0xffff, v11                             // 000000002E78: 263816FF 0000FFFF
	v_lshrrev_b32_e32 v29, 16, v11                             // 000000002E80: 203A1690
	v_and_b32_e32 v30, 0xffff, v19                             // 000000002E84: 263C26FF 0000FFFF
	v_lshrrev_b32_e32 v31, 16, v19                             // 000000002E8C: 203E2690
	v_cvt_f32_bf16_e32 v28, v28                                // 000000002E90: 7E38B71C
	v_cvt_f32_bf16_e32 v30, v30                                // 000000002E94: 7E3CB71E
	v_cvt_f32_bf16_e32 v29, v29                                // 000000002E98: 7E3AB71D
	v_cvt_f32_bf16_e32 v31, v31                                // 000000002E9C: 7E3EB71F
	v_fma_f32 v32, v28, v30, v32                               // 000000002EA0: D1CB0020 04823D1C
	v_fma_f32 v32, v29, v31, v32                               // 000000002EA8: D1CB0020 04823F1D
	v_and_b32_e32 v28, 0xffff, v12                             // 000000002EB0: 263818FF 0000FFFF
	v_lshrrev_b32_e32 v29, 16, v12                             // 000000002EB8: 203A1890
	v_and_b32_e32 v30, 0xffff, v20                             // 000000002EBC: 263C28FF 0000FFFF
	v_lshrrev_b32_e32 v31, 16, v20                             // 000000002EC4: 203E2890
	v_cvt_f32_bf16_e32 v28, v28                                // 000000002EC8: 7E38B71C
	v_cvt_f32_bf16_e32 v30, v30                                // 000000002ECC: 7E3CB71E
	v_cvt_f32_bf16_e32 v29, v29                                // 000000002ED0: 7E3AB71D
	v_cvt_f32_bf16_e32 v31, v31                                // 000000002ED4: 7E3EB71F
	v_fma_f32 v32, v28, v30, v32                               // 000000002ED8: D1CB0020 04823D1C
	v_fma_f32 v32, v29, v31, v32                               // 000000002EE0: D1CB0020 04823F1D
	v_and_b32_e32 v28, 0xffff, v13                             // 000000002EE8: 26381AFF 0000FFFF
	v_lshrrev_b32_e32 v29, 16, v13                             // 000000002EF0: 203A1A90
	v_and_b32_e32 v30, 0xffff, v21                             // 000000002EF4: 263C2AFF 0000FFFF
	v_lshrrev_b32_e32 v31, 16, v21                             // 000000002EFC: 203E2A90
	v_cvt_f32_bf16_e32 v28, v28                                // 000000002F00: 7E38B71C
	v_cvt_f32_bf16_e32 v30, v30                                // 000000002F04: 7E3CB71E
	v_cvt_f32_bf16_e32 v29, v29                                // 000000002F08: 7E3AB71D
	v_cvt_f32_bf16_e32 v31, v31                                // 000000002F0C: 7E3EB71F
	v_fma_f32 v32, v28, v30, v32                               // 000000002F10: D1CB0020 04823D1C
	v_fma_f32 v32, v29, v31, v32                               // 000000002F18: D1CB0020 04823F1D
	ds_write_b32 v24, v32                                      // 000000002F20: D81A0000 00002018
	s_waitcnt lgkmcnt(0)                                       // 000000002F28: BF8CC07F
	s_mov_b64 exec, s[48:49]                                   // 000000002F2C: BEFE0130
	ds_read_b128 v[28:31], v26                                 // 000000002F30: D9FE0000 1C00001A
	s_waitcnt lgkmcnt(0)                                       // 000000002F38: BF8CC07F
	ds_read_b128 v[32:35], v27                                 // 000000002F3C: D9FE0000 2000001B
	s_waitcnt lgkmcnt(0)                                       // 000000002F44: BF8CC07F
	v_add_f32_e32 v22, v28, v22                                // 000000002F48: 022C2D1C
	v_add_f32_e32 v22, v29, v22                                // 000000002F4C: 022C2D1D
	v_add_f32_e32 v22, v30, v22                                // 000000002F50: 022C2D1E
	v_add_f32_e32 v22, v31, v22                                // 000000002F54: 022C2D1F
	v_add_f32_e32 v22, v32, v22                                // 000000002F58: 022C2D20
	v_add_f32_e32 v22, v33, v22                                // 000000002F5C: 022C2D21
	v_add_f32_e32 v22, v34, v22                                // 000000002F60: 022C2D22
	v_add_f32_e32 v22, v35, v22                                // 000000002F64: 022C2D23
	s_mov_b64 exec, -1                                         // 000000002F68: BEFE01C1
	s_mul_i32 s31, s8, 3                                       // 000000002F6C: 921F8308
	s_lshl_b32 s31, s31, 3                                     // 000000002F70: 8E1F831F
	v_add_u32_e32 v23, s31, v4                                 // 000000002F74: 682E081F
	s_mul_i32 s31, s52, 3                                      // 000000002F78: 921F8334
	s_lshl_b32 s31, s31, 3                                     // 000000002F7C: 8E1F831F
	v_add_u32_e32 v38, s31, v37                                // 000000002F80: 684C4A1F
	v_and_b32_e32 v36, 7, v0                                   // 000000002F84: 26480087
	v_cmp_eq_u32_e64 s[48:49], v36, 6                          // 000000002F88: D0CA0030 00010D24
	buffer_load_dwordx4 v[14:17], v38, s[20:23], 0 offen       // 000000002F90: E05C1000 80050E26
	buffer_load_dwordx4 v[6:9], v23, s[12:15], 0 offen         // 000000002F98: E05C1000 80030617
	v_add_u32_e32 v23, 0x80, v23                               // 000000002FA0: 682E2EFF 00000080
	v_add_u32_e32 v38, 0x80, v38                               // 000000002FA8: 684C4CFF 00000080
	s_waitcnt vmcnt(0) expcnt(0) lgkmcnt(0)                    // 000000002FB0: BF8C0000
	s_barrier                                                  // 000000002FB4: BF8A0000
	v_mov_b32_e32 v18, 0                                       // 000000002FB8: 7E240280
	v_mov_b32_e32 v10, 0                                       // 000000002FBC: 7E140280
	v_mov_b32_e32 v19, 0                                       // 000000002FC0: 7E260280
	v_mov_b32_e32 v11, 0                                       // 000000002FC4: 7E160280
	v_mov_b32_e32 v20, 0                                       // 000000002FC8: 7E280280
	v_mov_b32_e32 v12, 0                                       // 000000002FCC: 7E180280
	v_mov_b32_e32 v21, 0                                       // 000000002FD0: 7E2A0280
	v_mov_b32_e32 v13, 0                                       // 000000002FD4: 7E1A0280
	s_mov_b64 exec, s[36:37]                                   // 000000002FD8: BEFE0124
	buffer_load_dwordx4 v[18:21], v38, s[20:23], 0 offen       // 000000002FDC: E05C1000 80051226
	buffer_load_dwordx4 v[10:13], v23, s[12:15], 0 offen       // 000000002FE4: E05C1000 80030A17
	s_mov_b64 exec, -1                                         // 000000002FEC: BEFE01C1
	v_add_u32_e32 v23, 0x80, v23                               // 000000002FF0: 682E2EFF 00000080
	v_add_u32_e32 v38, 0x80, v38                               // 000000002FF8: 684C4CFF 00000080
	v_mov_b32_e32 v32, 0                                       // 000000003000: 7E400280
	v_and_b32_e32 v28, 0xffff, v6                              // 000000003004: 26380CFF 0000FFFF
	v_lshrrev_b32_e32 v29, 16, v6                              // 00000000300C: 203A0C90
	v_and_b32_e32 v30, 0xffff, v14                             // 000000003010: 263C1CFF 0000FFFF
	v_lshrrev_b32_e32 v31, 16, v14                             // 000000003018: 203E1C90
	v_cvt_f32_bf16_e32 v28, v28                                // 00000000301C: 7E38B71C
	v_cvt_f32_bf16_e32 v30, v30                                // 000000003020: 7E3CB71E
	v_cvt_f32_bf16_e32 v29, v29                                // 000000003024: 7E3AB71D
	v_cvt_f32_bf16_e32 v31, v31                                // 000000003028: 7E3EB71F
	v_fma_f32 v32, v28, v30, v32                               // 00000000302C: D1CB0020 04823D1C
	v_fma_f32 v32, v29, v31, v32                               // 000000003034: D1CB0020 04823F1D
	v_and_b32_e32 v28, 0xffff, v7                              // 00000000303C: 26380EFF 0000FFFF
	v_lshrrev_b32_e32 v29, 16, v7                              // 000000003044: 203A0E90
	v_and_b32_e32 v30, 0xffff, v15                             // 000000003048: 263C1EFF 0000FFFF
	v_lshrrev_b32_e32 v31, 16, v15                             // 000000003050: 203E1E90
	v_cvt_f32_bf16_e32 v28, v28                                // 000000003054: 7E38B71C
	v_cvt_f32_bf16_e32 v30, v30                                // 000000003058: 7E3CB71E
	v_cvt_f32_bf16_e32 v29, v29                                // 00000000305C: 7E3AB71D
	v_cvt_f32_bf16_e32 v31, v31                                // 000000003060: 7E3EB71F
	v_fma_f32 v32, v28, v30, v32                               // 000000003064: D1CB0020 04823D1C
	v_fma_f32 v32, v29, v31, v32                               // 00000000306C: D1CB0020 04823F1D
	v_and_b32_e32 v28, 0xffff, v8                              // 000000003074: 263810FF 0000FFFF
	v_lshrrev_b32_e32 v29, 16, v8                              // 00000000307C: 203A1090
	v_and_b32_e32 v30, 0xffff, v16                             // 000000003080: 263C20FF 0000FFFF
	v_lshrrev_b32_e32 v31, 16, v16                             // 000000003088: 203E2090
	v_cvt_f32_bf16_e32 v28, v28                                // 00000000308C: 7E38B71C
	v_cvt_f32_bf16_e32 v30, v30                                // 000000003090: 7E3CB71E
	v_cvt_f32_bf16_e32 v29, v29                                // 000000003094: 7E3AB71D
	v_cvt_f32_bf16_e32 v31, v31                                // 000000003098: 7E3EB71F
	v_fma_f32 v32, v28, v30, v32                               // 00000000309C: D1CB0020 04823D1C
	v_fma_f32 v32, v29, v31, v32                               // 0000000030A4: D1CB0020 04823F1D
	v_and_b32_e32 v28, 0xffff, v9                              // 0000000030AC: 263812FF 0000FFFF
	v_lshrrev_b32_e32 v29, 16, v9                              // 0000000030B4: 203A1290
	v_and_b32_e32 v30, 0xffff, v17                             // 0000000030B8: 263C22FF 0000FFFF
	v_lshrrev_b32_e32 v31, 16, v17                             // 0000000030C0: 203E2290
	v_cvt_f32_bf16_e32 v28, v28                                // 0000000030C4: 7E38B71C
	v_cvt_f32_bf16_e32 v30, v30                                // 0000000030C8: 7E3CB71E
	v_cvt_f32_bf16_e32 v29, v29                                // 0000000030CC: 7E3AB71D
	v_cvt_f32_bf16_e32 v31, v31                                // 0000000030D0: 7E3EB71F
	v_fma_f32 v32, v28, v30, v32                               // 0000000030D4: D1CB0020 04823D1C
	v_fma_f32 v32, v29, v31, v32                               // 0000000030DC: D1CB0020 04823F1D
	ds_write_b32 v24, v32                                      // 0000000030E4: D81A0000 00002018
	s_waitcnt lgkmcnt(0)                                       // 0000000030EC: BF8CC07F
	s_mov_b64 exec, s[48:49]                                   // 0000000030F0: BEFE0130
	ds_read_b128 v[28:31], v26                                 // 0000000030F4: D9FE0000 1C00001A
	s_waitcnt lgkmcnt(0)                                       // 0000000030FC: BF8CC07F
	ds_read_b128 v[32:35], v27                                 // 000000003100: D9FE0000 2000001B
	s_waitcnt lgkmcnt(0)                                       // 000000003108: BF8CC07F
	v_add_f32_e32 v22, v28, v22                                // 00000000310C: 022C2D1C
	v_add_f32_e32 v22, v29, v22                                // 000000003110: 022C2D1D
	v_add_f32_e32 v22, v30, v22                                // 000000003114: 022C2D1E
	v_add_f32_e32 v22, v31, v22                                // 000000003118: 022C2D1F
	v_add_f32_e32 v22, v32, v22                                // 00000000311C: 022C2D20
	v_add_f32_e32 v22, v33, v22                                // 000000003120: 022C2D21
	v_add_f32_e32 v22, v34, v22                                // 000000003124: 022C2D22
	v_add_f32_e32 v22, v35, v22                                // 000000003128: 022C2D23
	s_mov_b64 exec, -1                                         // 00000000312C: BEFE01C1
	s_waitcnt vmcnt(0) expcnt(0) lgkmcnt(0)                    // 000000003130: BF8C0000
	s_barrier                                                  // 000000003134: BF8A0000
	v_mov_b32_e32 v32, 0                                       // 000000003138: 7E400280
	v_and_b32_e32 v28, 0xffff, v10                             // 00000000313C: 263814FF 0000FFFF
	v_lshrrev_b32_e32 v29, 16, v10                             // 000000003144: 203A1490
	v_and_b32_e32 v30, 0xffff, v18                             // 000000003148: 263C24FF 0000FFFF
	v_lshrrev_b32_e32 v31, 16, v18                             // 000000003150: 203E2490
	v_cvt_f32_bf16_e32 v28, v28                                // 000000003154: 7E38B71C
	v_cvt_f32_bf16_e32 v30, v30                                // 000000003158: 7E3CB71E
	v_cvt_f32_bf16_e32 v29, v29                                // 00000000315C: 7E3AB71D
	v_cvt_f32_bf16_e32 v31, v31                                // 000000003160: 7E3EB71F
	v_fma_f32 v32, v28, v30, v32                               // 000000003164: D1CB0020 04823D1C
	v_fma_f32 v32, v29, v31, v32                               // 00000000316C: D1CB0020 04823F1D
	v_and_b32_e32 v28, 0xffff, v11                             // 000000003174: 263816FF 0000FFFF
	v_lshrrev_b32_e32 v29, 16, v11                             // 00000000317C: 203A1690
	v_and_b32_e32 v30, 0xffff, v19                             // 000000003180: 263C26FF 0000FFFF
	v_lshrrev_b32_e32 v31, 16, v19                             // 000000003188: 203E2690
	v_cvt_f32_bf16_e32 v28, v28                                // 00000000318C: 7E38B71C
	v_cvt_f32_bf16_e32 v30, v30                                // 000000003190: 7E3CB71E
	v_cvt_f32_bf16_e32 v29, v29                                // 000000003194: 7E3AB71D
	v_cvt_f32_bf16_e32 v31, v31                                // 000000003198: 7E3EB71F
	v_fma_f32 v32, v28, v30, v32                               // 00000000319C: D1CB0020 04823D1C
	v_fma_f32 v32, v29, v31, v32                               // 0000000031A4: D1CB0020 04823F1D
	v_and_b32_e32 v28, 0xffff, v12                             // 0000000031AC: 263818FF 0000FFFF
	v_lshrrev_b32_e32 v29, 16, v12                             // 0000000031B4: 203A1890
	v_and_b32_e32 v30, 0xffff, v20                             // 0000000031B8: 263C28FF 0000FFFF
	v_lshrrev_b32_e32 v31, 16, v20                             // 0000000031C0: 203E2890
	v_cvt_f32_bf16_e32 v28, v28                                // 0000000031C4: 7E38B71C
	v_cvt_f32_bf16_e32 v30, v30                                // 0000000031C8: 7E3CB71E
	v_cvt_f32_bf16_e32 v29, v29                                // 0000000031CC: 7E3AB71D
	v_cvt_f32_bf16_e32 v31, v31                                // 0000000031D0: 7E3EB71F
	v_fma_f32 v32, v28, v30, v32                               // 0000000031D4: D1CB0020 04823D1C
	v_fma_f32 v32, v29, v31, v32                               // 0000000031DC: D1CB0020 04823F1D
	v_and_b32_e32 v28, 0xffff, v13                             // 0000000031E4: 26381AFF 0000FFFF
	v_lshrrev_b32_e32 v29, 16, v13                             // 0000000031EC: 203A1A90
	v_and_b32_e32 v30, 0xffff, v21                             // 0000000031F0: 263C2AFF 0000FFFF
	v_lshrrev_b32_e32 v31, 16, v21                             // 0000000031F8: 203E2A90
	v_cvt_f32_bf16_e32 v28, v28                                // 0000000031FC: 7E38B71C
	v_cvt_f32_bf16_e32 v30, v30                                // 000000003200: 7E3CB71E
	v_cvt_f32_bf16_e32 v29, v29                                // 000000003204: 7E3AB71D
	v_cvt_f32_bf16_e32 v31, v31                                // 000000003208: 7E3EB71F
	v_fma_f32 v32, v28, v30, v32                               // 00000000320C: D1CB0020 04823D1C
	v_fma_f32 v32, v29, v31, v32                               // 000000003214: D1CB0020 04823F1D
	ds_write_b32 v24, v32                                      // 00000000321C: D81A0000 00002018
	s_waitcnt lgkmcnt(0)                                       // 000000003224: BF8CC07F
	s_mov_b64 exec, s[48:49]                                   // 000000003228: BEFE0130
	ds_read_b128 v[28:31], v26                                 // 00000000322C: D9FE0000 1C00001A
	s_waitcnt lgkmcnt(0)                                       // 000000003234: BF8CC07F
	ds_read_b128 v[32:35], v27                                 // 000000003238: D9FE0000 2000001B
	s_waitcnt lgkmcnt(0)                                       // 000000003240: BF8CC07F
	v_add_f32_e32 v22, v28, v22                                // 000000003244: 022C2D1C
	v_add_f32_e32 v22, v29, v22                                // 000000003248: 022C2D1D
	v_add_f32_e32 v22, v30, v22                                // 00000000324C: 022C2D1E
	v_add_f32_e32 v22, v31, v22                                // 000000003250: 022C2D1F
	v_add_f32_e32 v22, v32, v22                                // 000000003254: 022C2D20
	v_add_f32_e32 v22, v33, v22                                // 000000003258: 022C2D21
	v_add_f32_e32 v22, v34, v22                                // 00000000325C: 022C2D22
	v_add_f32_e32 v22, v35, v22                                // 000000003260: 022C2D23
	s_mov_b64 exec, -1                                         // 000000003264: BEFE01C1
	s_mov_b64 exec, s[38:39]                                   // 000000003268: BEFE0126
	buffer_store_dword v22, v5, s[16:19], 0 offen              // 00000000326C: E0701000 80041605
	s_waitcnt vmcnt(0) expcnt(0) lgkmcnt(0)                    // 000000003274: BF8C0000
	s_endpgm                                                   // 000000003278: BF810000
